;; amdgpu-corpus repo=ROCm/rocFFT kind=compiled arch=gfx906 opt=O3
	.text
	.amdgcn_target "amdgcn-amd-amdhsa--gfx906"
	.amdhsa_code_object_version 6
	.protected	fft_rtc_back_len121_factors_11_11_wgs_121_tpt_11_dp_op_CI_CI_sbrc_aligned_dirReg ; -- Begin function fft_rtc_back_len121_factors_11_11_wgs_121_tpt_11_dp_op_CI_CI_sbrc_aligned_dirReg
	.globl	fft_rtc_back_len121_factors_11_11_wgs_121_tpt_11_dp_op_CI_CI_sbrc_aligned_dirReg
	.p2align	8
	.type	fft_rtc_back_len121_factors_11_11_wgs_121_tpt_11_dp_op_CI_CI_sbrc_aligned_dirReg,@function
fft_rtc_back_len121_factors_11_11_wgs_121_tpt_11_dp_op_CI_CI_sbrc_aligned_dirReg: ; @fft_rtc_back_len121_factors_11_11_wgs_121_tpt_11_dp_op_CI_CI_sbrc_aligned_dirReg
; %bb.0:
	s_load_dwordx8 s[8:15], s[4:5], 0x0
	s_mov_b32 s34, 0
	s_mov_b32 s30, 3
	s_mov_b64 s[36:37], 2
	s_waitcnt lgkmcnt(0)
	s_load_dword s0, s[12:13], 0x8
	s_load_dwordx4 s[20:23], s[4:5], 0x58
	s_load_dwordx2 s[28:29], s[4:5], 0x20
	s_load_dwordx4 s[24:27], s[14:15], 0x0
	s_mov_b32 s5, s34
	s_waitcnt lgkmcnt(0)
	s_add_i32 s0, s0, -1
	s_mul_hi_u32 s0, s0, 0xba2e8ba3
	s_lshr_b32 s0, s0, 3
	s_add_i32 s7, s0, 1
	v_cvt_f32_u32_e32 v1, s7
	s_sub_i32 s2, 0, s7
	s_load_dwordx4 s[16:19], s[28:29], 0x0
	v_cmp_gt_u64_e64 s[0:1], s[10:11], 2
	v_rcp_iflag_f32_e32 v1, v1
	v_mul_f32_e32 v1, 0x4f7ffffe, v1
	v_cvt_u32_f32_e32 v1, v1
	v_readfirstlane_b32 s3, v1
	s_mul_i32 s2, s2, s3
	s_mul_hi_u32 s2, s3, s2
	s_add_i32 s3, s3, s2
	s_mul_hi_u32 s2, s6, s3
	s_mul_i32 s3, s2, s7
	s_sub_i32 s3, s6, s3
	s_add_i32 s4, s2, 1
	s_waitcnt lgkmcnt(0)
	s_sub_i32 s19, s3, s7
	s_cmp_ge_u32 s3, s7
	s_cselect_b32 s2, s4, s2
	s_cselect_b32 s3, s19, s3
	s_add_i32 s4, s2, 1
	s_cmp_ge_u32 s3, s7
	s_cselect_b32 s19, s4, s2
	s_mul_i32 s2, s19, s7
	s_sub_i32 s2, s6, s2
	s_mul_i32 s2, s2, 11
	s_mul_i32 s3, s17, s2
	s_mul_hi_u32 s27, s16, s2
	s_mul_i32 s4, s2, s26
	s_mul_i32 s2, s16, s2
	s_add_i32 s3, s27, s3
	s_and_b64 vcc, exec, s[0:1]
	s_cbranch_vccz .LBB0_9
; %bb.1:
	v_mov_b32_e32 v1, s10
	v_mov_b32_e32 v2, s11
.LBB0_2:                                ; =>This Inner Loop Header: Depth=1
	s_lshl_b64 s[36:37], s[36:37], 3
	s_add_u32 s0, s12, s36
	s_addc_u32 s1, s13, s37
	s_load_dwordx2 s[38:39], s[0:1], 0x0
	s_waitcnt lgkmcnt(0)
	s_mov_b32 s35, s39
	s_cmp_lg_u64 s[34:35], 0
	s_cbranch_scc0 .LBB0_7
; %bb.3:                                ;   in Loop: Header=BB0_2 Depth=1
	v_cvt_f32_u32_e32 v3, s38
	v_cvt_f32_u32_e32 v4, s39
	s_sub_u32 s0, 0, s38
	s_subb_u32 s1, 0, s39
	v_mac_f32_e32 v3, 0x4f800000, v4
	v_rcp_f32_e32 v3, v3
	v_mul_f32_e32 v3, 0x5f7ffffc, v3
	v_mul_f32_e32 v4, 0x2f800000, v3
	v_trunc_f32_e32 v4, v4
	v_mac_f32_e32 v3, 0xcf800000, v4
	v_cvt_u32_f32_e32 v4, v4
	v_cvt_u32_f32_e32 v3, v3
	v_readfirstlane_b32 s27, v4
	v_readfirstlane_b32 s31, v3
	s_mul_i32 s33, s0, s27
	s_mul_hi_u32 s40, s0, s31
	s_mul_i32 s35, s1, s31
	s_add_i32 s33, s40, s33
	s_mul_i32 s41, s0, s31
	s_add_i32 s33, s33, s35
	s_mul_hi_u32 s35, s31, s33
	s_mul_i32 s40, s31, s33
	s_mul_hi_u32 s31, s31, s41
	s_add_u32 s31, s31, s40
	s_addc_u32 s35, 0, s35
	s_mul_hi_u32 s42, s27, s41
	s_mul_i32 s41, s27, s41
	s_add_u32 s31, s31, s41
	s_mul_hi_u32 s40, s27, s33
	s_addc_u32 s31, s35, s42
	s_addc_u32 s35, s40, 0
	s_mul_i32 s33, s27, s33
	s_add_u32 s31, s31, s33
	s_addc_u32 s33, 0, s35
	v_add_co_u32_e32 v3, vcc, s31, v3
	s_cmp_lg_u64 vcc, 0
	s_addc_u32 s27, s27, s33
	v_readfirstlane_b32 s33, v3
	s_mul_i32 s31, s0, s27
	s_mul_hi_u32 s35, s0, s33
	s_add_i32 s31, s35, s31
	s_mul_i32 s1, s1, s33
	s_add_i32 s31, s31, s1
	s_mul_i32 s0, s0, s33
	s_mul_hi_u32 s35, s27, s0
	s_mul_i32 s40, s27, s0
	s_mul_i32 s42, s33, s31
	s_mul_hi_u32 s0, s33, s0
	s_mul_hi_u32 s41, s33, s31
	s_add_u32 s0, s0, s42
	s_addc_u32 s33, 0, s41
	s_add_u32 s0, s0, s40
	s_mul_hi_u32 s1, s27, s31
	s_addc_u32 s0, s33, s35
	s_addc_u32 s1, s1, 0
	s_mul_i32 s31, s27, s31
	s_add_u32 s0, s0, s31
	s_addc_u32 s1, 0, s1
	v_add_co_u32_e32 v3, vcc, s0, v3
	s_cmp_lg_u64 vcc, 0
	s_addc_u32 s0, s27, s1
	v_readfirstlane_b32 s27, v3
	s_mul_hi_u32 s1, s19, s0
	s_mul_i32 s0, s19, s0
	s_mul_hi_u32 s27, s19, s27
	s_add_u32 s0, s27, s0
	s_addc_u32 s27, 0, s1
	s_mul_i32 s0, s39, s27
	s_mul_hi_u32 s1, s38, s27
	s_add_i32 s31, s1, s0
	s_mul_i32 s1, s38, s27
	v_mov_b32_e32 v3, s1
	s_sub_i32 s0, 0, s31
	v_sub_co_u32_e32 v3, vcc, s19, v3
	s_cmp_lg_u64 vcc, 0
	s_subb_u32 s33, s0, s39
	v_subrev_co_u32_e64 v4, s[0:1], s38, v3
	s_cmp_lg_u64 s[0:1], 0
	s_subb_u32 s0, s33, 0
	s_cmp_ge_u32 s0, s39
	v_readfirstlane_b32 s33, v4
	s_cselect_b32 s1, -1, 0
	s_cmp_ge_u32 s33, s38
	s_cselect_b32 s33, -1, 0
	s_cmp_eq_u32 s0, s39
	s_cselect_b32 s0, s33, s1
	s_add_u32 s1, s27, 1
	s_addc_u32 s33, 0, 0
	s_add_u32 s35, s27, 2
	s_addc_u32 s40, 0, 0
	s_cmp_lg_u32 s0, 0
	s_cselect_b32 s0, s35, s1
	s_cselect_b32 s1, s40, s33
	s_cmp_lg_u64 vcc, 0
	s_subb_u32 s31, 0, s31
	s_cmp_ge_u32 s31, s39
	v_readfirstlane_b32 s35, v3
	s_cselect_b32 s33, -1, 0
	s_cmp_ge_u32 s35, s38
	s_cselect_b32 s35, -1, 0
	s_cmp_eq_u32 s31, s39
	s_cselect_b32 s31, s35, s33
	s_cmp_lg_u32 s31, 0
	s_cselect_b32 s1, s1, 0
	s_cselect_b32 s0, s0, s27
	s_cbranch_execnz .LBB0_5
.LBB0_4:                                ;   in Loop: Header=BB0_2 Depth=1
	v_cvt_f32_u32_e32 v3, s38
	s_sub_i32 s0, 0, s38
	v_rcp_iflag_f32_e32 v3, v3
	v_mul_f32_e32 v3, 0x4f7ffffe, v3
	v_cvt_u32_f32_e32 v3, v3
	v_readfirstlane_b32 s1, v3
	s_mul_i32 s0, s0, s1
	s_mul_hi_u32 s0, s1, s0
	s_add_i32 s1, s1, s0
	s_mul_hi_u32 s0, s19, s1
	s_mul_i32 s27, s0, s38
	s_sub_i32 s27, s19, s27
	s_add_i32 s1, s0, 1
	s_sub_i32 s31, s27, s38
	s_cmp_ge_u32 s27, s38
	s_cselect_b32 s0, s1, s0
	s_cselect_b32 s27, s31, s27
	s_add_i32 s1, s0, 1
	s_cmp_ge_u32 s27, s38
	s_cselect_b32 s0, s1, s0
	s_mov_b32 s1, s34
.LBB0_5:                                ;   in Loop: Header=BB0_2 Depth=1
	s_mul_i32 s27, s0, s39
	s_mul_hi_u32 s31, s0, s38
	s_add_i32 s27, s31, s27
	s_mul_i32 s1, s1, s38
	s_add_i32 s27, s27, s1
	s_mul_i32 s1, s0, s38
	s_sub_u32 s1, s19, s1
	s_subb_u32 s19, 0, s27
	s_add_u32 s40, s14, s36
	s_addc_u32 s41, s15, s37
	s_load_dwordx2 s[40:41], s[40:41], 0x0
	s_mul_i32 s7, s7, s38
	s_waitcnt lgkmcnt(0)
	s_mul_i32 s27, s40, s19
	s_mul_hi_u32 s31, s40, s1
	s_add_i32 s27, s31, s27
	s_mul_i32 s31, s41, s1
	s_add_i32 s27, s27, s31
	s_mul_i32 s31, s40, s1
	s_add_u32 s4, s31, s4
	s_addc_u32 s5, s27, s5
	s_add_u32 s36, s28, s36
	s_addc_u32 s37, s29, s37
	s_load_dwordx2 s[36:37], s[36:37], 0x0
	s_mov_b32 s31, s34
	v_cmp_ge_u64_e32 vcc, s[30:31], v[1:2]
	s_waitcnt lgkmcnt(0)
	s_mul_i32 s19, s36, s19
	s_mul_hi_u32 s27, s36, s1
	s_add_i32 s19, s27, s19
	s_mul_i32 s27, s37, s1
	s_add_i32 s19, s19, s27
	s_mul_i32 s1, s36, s1
	s_add_u32 s2, s1, s2
	s_addc_u32 s3, s19, s3
	s_mov_b64 s[36:37], s[30:31]
	s_add_i32 s30, s30, 1
	s_cbranch_vccnz .LBB0_8
; %bb.6:                                ;   in Loop: Header=BB0_2 Depth=1
	s_mov_b32 s19, s0
	s_branch .LBB0_2
.LBB0_7:                                ;   in Loop: Header=BB0_2 Depth=1
                                        ; implicit-def: $sgpr0_sgpr1
	s_branch .LBB0_4
.LBB0_8:
	v_cvt_f32_u32_e32 v1, s7
	s_sub_i32 s0, 0, s7
	v_rcp_iflag_f32_e32 v1, v1
	v_mul_f32_e32 v1, 0x4f7ffffe, v1
	v_cvt_u32_f32_e32 v1, v1
	v_readfirstlane_b32 s1, v1
	s_mul_i32 s0, s0, s1
	s_mul_hi_u32 s0, s1, s0
	s_add_i32 s1, s1, s0
	s_mul_hi_u32 s0, s6, s1
	s_mul_i32 s1, s0, s7
	s_sub_i32 s1, s6, s1
	s_add_i32 s12, s0, 1
	s_sub_i32 s6, s1, s7
	s_cmp_ge_u32 s1, s7
	s_cselect_b32 s0, s12, s0
	s_cselect_b32 s1, s6, s1
	s_add_i32 s6, s0, 1
	s_cmp_ge_u32 s1, s7
	s_cselect_b32 s19, s6, s0
.LBB0_9:
	s_lshl_b64 s[0:1], s[10:11], 3
	s_add_u32 s6, s14, s0
	s_addc_u32 s7, s15, s1
	s_load_dwordx2 s[6:7], s[6:7], 0x0
	v_mul_u32_u24_e32 v1, 0x21e, v0
	v_lshrrev_b32_e32 v47, 16, v1
	v_mul_lo_u16_e32 v1, 0x79, v47
	v_sub_u16_e32 v55, v0, v1
	s_waitcnt lgkmcnt(0)
	s_mul_i32 s7, s7, s19
	s_mul_hi_u32 s10, s6, s19
	s_add_i32 s7, s10, s7
	s_add_u32 s0, s28, s0
	s_addc_u32 s1, s29, s1
	v_mad_u64_u32 v[1:2], s[10:11], s24, v55, 0
	s_load_dwordx2 s[0:1], s[0:1], 0x0
	s_mul_i32 s6, s6, s19
	v_mad_u64_u32 v[2:3], s[10:11], s25, v55, v[2:3]
	s_lshl_b64 s[6:7], s[6:7], 4
	s_waitcnt lgkmcnt(0)
	s_mul_i32 s1, s1, s19
	s_mul_hi_u32 s10, s0, s19
	s_add_i32 s1, s10, s1
	s_add_u32 s6, s20, s6
	v_mul_lo_u32 v33, s26, v47
	s_addc_u32 s7, s21, s7
	s_lshl_b64 s[4:5], s[4:5], 4
	s_add_u32 s4, s6, s4
	v_lshlrev_b64 v[1:2], 4, v[1:2]
	s_addc_u32 s5, s7, s5
	v_mov_b32_e32 v34, 0
	v_mov_b32_e32 v3, s5
	v_add_co_u32_e32 v48, vcc, s4, v1
	v_addc_co_u32_e32 v49, vcc, v3, v2, vcc
	v_lshlrev_b64 v[1:2], 4, v[33:34]
	v_add_u32_e32 v33, s26, v33
	v_add_co_u32_e32 v9, vcc, v48, v1
	v_addc_co_u32_e32 v10, vcc, v49, v2, vcc
	v_lshlrev_b64 v[1:2], 4, v[33:34]
	v_add_u32_e32 v33, s26, v33
	v_add_co_u32_e32 v11, vcc, v48, v1
	v_addc_co_u32_e32 v12, vcc, v49, v2, vcc
	global_load_dwordx4 v[1:4], v[9:10], off
	global_load_dwordx4 v[5:8], v[11:12], off
	v_lshlrev_b64 v[9:10], 4, v[33:34]
	v_add_u32_e32 v33, s26, v33
	v_add_co_u32_e32 v17, vcc, v48, v9
	v_addc_co_u32_e32 v18, vcc, v49, v10, vcc
	v_lshlrev_b64 v[9:10], 4, v[33:34]
	v_add_u32_e32 v33, s26, v33
	v_add_co_u32_e32 v19, vcc, v48, v9
	v_addc_co_u32_e32 v20, vcc, v49, v10, vcc
	global_load_dwordx4 v[9:12], v[17:18], off
	global_load_dwordx4 v[13:16], v[19:20], off
	;; [unrolled: 10-line block ×5, first 2 shown]
	v_lshlrev_b64 v[43:44], 4, v[33:34]
	v_mul_u32_u24_e32 v33, 0x1746, v0
	v_add_co_u32_e32 v43, vcc, v48, v43
	v_addc_co_u32_e32 v44, vcc, v49, v44, vcc
	global_load_dwordx4 v[43:46], v[43:44], off
	v_lshrrev_b32_e32 v57, 16, v33
	v_mul_lo_u16_e32 v33, 11, v57
	v_mul_u32_u24_e32 v48, 0xb0, v55
	v_lshlrev_b32_e32 v47, 4, v47
	v_sub_u16_e32 v33, v0, v33
	v_add3_u32 v47, 0, v48, v47
	s_mov_b32 s14, 0xf8bb580b
	s_mov_b32 s6, 0x8eee2c13
	;; [unrolled: 1-line block ×20, first 2 shown]
	s_waitcnt vmcnt(10)
	ds_write_b128 v47, v[1:4]
	s_waitcnt vmcnt(9)
	ds_write_b128 v47, v[5:8] offset:16
	s_waitcnt vmcnt(8)
	ds_write_b128 v47, v[9:12] offset:32
	s_waitcnt vmcnt(7)
	ds_write_b128 v47, v[13:16] offset:48
	s_waitcnt vmcnt(6)
	ds_write_b128 v47, v[17:20] offset:64
	s_waitcnt vmcnt(5)
	ds_write_b128 v47, v[21:24] offset:80
	s_waitcnt vmcnt(4)
	ds_write_b128 v47, v[25:28] offset:96
	s_waitcnt vmcnt(3)
	ds_write_b128 v47, v[29:32] offset:112
	s_waitcnt vmcnt(2)
	ds_write_b128 v47, v[35:38] offset:128
	s_waitcnt vmcnt(1)
	ds_write_b128 v47, v[39:42] offset:144
	s_waitcnt vmcnt(0)
	ds_write_b128 v47, v[43:46] offset:160
	v_mul_u32_u24_e32 v1, 0xb0, v57
	v_lshlrev_b32_e32 v2, 4, v33
	v_add3_u32 v56, 0, v1, v2
	s_waitcnt lgkmcnt(0)
	s_barrier
	ds_read_b128 v[5:8], v56
	ds_read_b128 v[1:4], v56 offset:1936
	ds_read_b128 v[17:20], v56 offset:3872
	ds_read_b128 v[58:61], v56 offset:5808
	s_mov_b32 s35, 0x3fe14ced
	s_mov_b32 s34, s14
	;; [unrolled: 1-line block ×3, first 2 shown]
	s_waitcnt lgkmcnt(2)
	v_add_f64 v[9:10], v[5:6], v[1:2]
	v_add_f64 v[11:12], v[7:8], v[3:4]
	s_mov_b32 s28, s6
	s_mov_b32 s31, 0x3fefac9e
	;; [unrolled: 1-line block ×6, first 2 shown]
	s_waitcnt lgkmcnt(1)
	v_add_f64 v[9:10], v[9:10], v[17:18]
	v_add_f64 v[11:12], v[11:12], v[19:20]
	s_mov_b32 s42, s36
	s_movk_i32 s33, 0x6e0
	v_sub_u32_e32 v0, v0, v55
	s_lshl_b64 s[2:3], s[2:3], 4
	s_mul_i32 s0, s0, s19
	s_add_u32 s2, s22, s2
	s_waitcnt lgkmcnt(0)
	v_add_f64 v[13:14], v[9:10], v[58:59]
	v_add_f64 v[15:16], v[11:12], v[60:61]
	ds_read_b128 v[62:65], v56 offset:7744
	ds_read_b128 v[9:12], v56 offset:9680
	s_addc_u32 s3, s23, s3
	s_lshl_b64 s[0:1], s[0:1], 4
	s_add_u32 s0, s0, s2
	s_addc_u32 s1, s1, s3
	s_waitcnt lgkmcnt(1)
	v_add_f64 v[13:14], v[13:14], v[62:63]
	v_add_f64 v[15:16], v[15:16], v[64:65]
	s_waitcnt lgkmcnt(0)
	v_add_f64 v[21:22], v[13:14], v[9:10]
	v_add_f64 v[23:24], v[15:16], v[11:12]
	ds_read_b128 v[13:16], v56 offset:11616
	ds_read_b128 v[66:69], v56 offset:13552
	s_waitcnt lgkmcnt(0)
	v_add_f64 v[51:52], v[62:63], v[66:67]
	v_add_f64 v[21:22], v[21:22], v[13:14]
	;; [unrolled: 1-line block ×3, first 2 shown]
	v_add_f64 v[43:44], v[62:63], -v[66:67]
	v_add_f64 v[62:63], v[64:65], -v[68:69]
	v_add_f64 v[25:26], v[21:22], v[66:67]
	v_add_f64 v[27:28], v[23:24], v[68:69]
	ds_read_b128 v[21:24], v56 offset:19360
	ds_read_b128 v[70:73], v56 offset:15488
	;; [unrolled: 1-line block ×3, first 2 shown]
	s_waitcnt lgkmcnt(0)
	s_barrier
	v_add_f64 v[47:48], v[3:4], -v[23:24]
	v_add_f64 v[45:46], v[1:2], v[21:22]
	v_add_f64 v[41:42], v[3:4], v[23:24]
	;; [unrolled: 1-line block ×4, first 2 shown]
	v_add_f64 v[31:32], v[1:2], -v[21:22]
	v_mul_f64 v[29:30], v[47:48], s[14:15]
	v_mul_f64 v[39:40], v[47:48], s[6:7]
	;; [unrolled: 1-line block ×3, first 2 shown]
	v_add_f64 v[25:26], v[25:26], v[74:75]
	v_add_f64 v[27:28], v[27:28], v[76:77]
	v_mul_f64 v[53:54], v[47:48], s[24:25]
	v_mul_f64 v[80:81], v[41:42], s[26:27]
	v_fma_f64 v[35:36], v[45:46], s[20:21], v[29:30]
	v_fma_f64 v[29:30], v[45:46], s[20:21], -v[29:30]
	v_fma_f64 v[37:38], v[45:46], s[10:11], v[39:40]
	v_add_f64 v[1:2], v[25:26], v[21:22]
	v_add_f64 v[3:4], v[27:28], v[23:24]
	;; [unrolled: 1-line block ×3, first 2 shown]
	v_add_f64 v[27:28], v[19:20], -v[76:77]
	v_add_f64 v[19:20], v[11:12], v[15:16]
	v_add_f64 v[11:12], v[11:12], -v[15:16]
	v_mul_f64 v[15:16], v[47:48], s[36:37]
	v_fma_f64 v[39:40], v[45:46], s[10:11], -v[39:40]
	v_add_f64 v[23:24], v[17:18], v[74:75]
	v_add_f64 v[21:22], v[17:18], -v[74:75]
	v_add_f64 v[74:75], v[58:59], v[70:71]
	v_add_f64 v[76:77], v[60:61], v[72:73]
	v_add_f64 v[58:59], v[58:59], -v[70:71]
	v_add_f64 v[60:61], v[60:61], -v[72:73]
	v_add_f64 v[70:71], v[64:65], v[68:69]
	v_add_f64 v[17:18], v[9:10], v[13:14]
	v_add_f64 v[9:10], v[9:10], -v[13:14]
	v_fma_f64 v[13:14], v[45:46], s[12:13], v[49:50]
	v_fma_f64 v[47:48], v[45:46], s[12:13], -v[49:50]
	v_fma_f64 v[49:50], v[45:46], s[26:27], v[53:54]
	v_fma_f64 v[53:54], v[45:46], s[26:27], -v[53:54]
	v_mul_f64 v[64:65], v[41:42], s[20:21]
	v_fma_f64 v[66:67], v[45:46], s[38:39], v[15:16]
	v_fma_f64 v[15:16], v[45:46], s[38:39], -v[15:16]
	v_mul_f64 v[45:46], v[41:42], s[10:11]
	v_mul_f64 v[72:73], v[41:42], s[12:13]
	;; [unrolled: 1-line block ×3, first 2 shown]
	v_fma_f64 v[84:85], v[31:32], s[40:41], v[80:81]
	v_fma_f64 v[80:81], v[31:32], s[24:25], v[80:81]
	;; [unrolled: 1-line block ×4, first 2 shown]
	v_mul_f64 v[88:89], v[25:26], s[10:11]
	v_fma_f64 v[78:79], v[31:32], s[28:29], v[45:46]
	v_fma_f64 v[82:83], v[31:32], s[30:31], v[72:73]
	;; [unrolled: 1-line block ×6, first 2 shown]
	v_add_f64 v[41:42], v[7:8], v[68:69]
	v_add_f64 v[35:36], v[5:6], v[35:36]
	;; [unrolled: 1-line block ×4, first 2 shown]
	v_mul_f64 v[82:83], v[27:28], s[6:7]
	v_add_f64 v[29:30], v[5:6], v[29:30]
	v_add_f64 v[37:38], v[5:6], v[37:38]
	v_add_f64 v[39:40], v[5:6], v[39:40]
	v_add_f64 v[13:14], v[5:6], v[13:14]
	v_add_f64 v[47:48], v[5:6], v[47:48]
	v_add_f64 v[49:50], v[5:6], v[49:50]
	v_add_f64 v[53:54], v[5:6], v[53:54]
	v_fma_f64 v[90:91], v[23:24], s[10:11], v[82:83]
	v_add_f64 v[66:67], v[5:6], v[66:67]
	v_fma_f64 v[92:93], v[21:22], s[28:29], v[88:89]
	v_mul_f64 v[94:95], v[27:28], s[24:25]
	v_add_f64 v[5:6], v[5:6], v[15:16]
	v_mul_f64 v[15:16], v[25:26], s[26:27]
	v_add_f64 v[64:65], v[7:8], v[64:65]
	v_add_f64 v[45:46], v[7:8], v[45:46]
	;; [unrolled: 1-line block ×8, first 2 shown]
	v_fma_f64 v[35:36], v[23:24], s[10:11], -v[82:83]
	v_add_f64 v[41:42], v[92:93], v[41:42]
	v_fma_f64 v[82:83], v[21:22], s[6:7], v[88:89]
	v_fma_f64 v[88:89], v[23:24], s[26:27], v[94:95]
	v_mul_f64 v[90:91], v[27:28], s[42:43]
	v_fma_f64 v[92:93], v[21:22], s[40:41], v[15:16]
	v_mul_f64 v[96:97], v[25:26], s[38:39]
	v_fma_f64 v[15:16], v[21:22], s[24:25], v[15:16]
	v_add_f64 v[29:30], v[35:36], v[29:30]
	v_fma_f64 v[94:95], v[23:24], s[26:27], -v[94:95]
	v_add_f64 v[35:36], v[82:83], v[64:65]
	v_add_f64 v[37:38], v[88:89], v[37:38]
	v_fma_f64 v[64:65], v[23:24], s[38:39], v[90:91]
	v_fma_f64 v[88:89], v[23:24], s[38:39], -v[90:91]
	v_mul_f64 v[90:91], v[27:28], s[30:31]
	v_add_f64 v[15:16], v[15:16], v[45:46]
	v_fma_f64 v[45:46], v[21:22], s[42:43], v[96:97]
	v_fma_f64 v[82:83], v[21:22], s[36:37], v[96:97]
	v_mul_f64 v[27:28], v[27:28], s[34:35]
	v_add_f64 v[68:69], v[92:93], v[68:69]
	v_add_f64 v[13:14], v[64:65], v[13:14]
	v_mul_f64 v[64:65], v[25:26], s[12:13]
	v_mul_f64 v[25:26], v[25:26], s[20:21]
	v_add_f64 v[47:48], v[88:89], v[47:48]
	v_add_f64 v[45:46], v[45:46], v[72:73]
	v_fma_f64 v[72:73], v[23:24], s[12:13], v[90:91]
	v_add_f64 v[78:79], v[82:83], v[78:79]
	v_fma_f64 v[82:83], v[23:24], s[12:13], -v[90:91]
	v_fma_f64 v[90:91], v[23:24], s[20:21], v[27:28]
	v_fma_f64 v[88:89], v[21:22], s[4:5], v[64:65]
	v_fma_f64 v[23:24], v[23:24], s[20:21], -v[27:28]
	v_fma_f64 v[27:28], v[21:22], s[30:31], v[64:65]
	v_fma_f64 v[64:65], v[21:22], s[14:15], v[25:26]
	v_mul_f64 v[92:93], v[60:61], s[4:5]
	v_fma_f64 v[21:22], v[21:22], s[34:35], v[25:26]
	v_add_f64 v[25:26], v[72:73], v[49:50]
	v_mul_f64 v[72:73], v[76:77], s[12:13]
	v_add_f64 v[49:50], v[88:89], v[84:85]
	v_add_f64 v[53:54], v[82:83], v[53:54]
	;; [unrolled: 1-line block ×4, first 2 shown]
	v_fma_f64 v[80:81], v[74:75], s[12:13], v[92:93]
	v_mul_f64 v[82:83], v[60:61], s[42:43]
	v_mul_f64 v[84:85], v[76:77], s[38:39]
	v_fma_f64 v[86:87], v[58:59], s[30:31], v[72:73]
	v_add_f64 v[7:8], v[21:22], v[7:8]
	v_fma_f64 v[21:22], v[74:75], s[12:13], -v[92:93]
	v_add_f64 v[39:40], v[94:95], v[39:40]
	v_add_f64 v[5:6], v[23:24], v[5:6]
	;; [unrolled: 1-line block ×3, first 2 shown]
	v_fma_f64 v[31:32], v[58:59], s[4:5], v[72:73]
	v_fma_f64 v[72:73], v[74:75], s[38:39], v[82:83]
	;; [unrolled: 1-line block ×3, first 2 shown]
	v_add_f64 v[41:42], v[86:87], v[41:42]
	v_mul_f64 v[86:87], v[60:61], s[28:29]
	v_mul_f64 v[88:89], v[76:77], s[10:11]
	v_add_f64 v[21:22], v[21:22], v[29:30]
	v_fma_f64 v[29:30], v[74:75], s[38:39], -v[82:83]
	v_add_f64 v[31:32], v[31:32], v[35:36]
	v_add_f64 v[35:36], v[72:73], v[37:38]
	;; [unrolled: 1-line block ×3, first 2 shown]
	v_fma_f64 v[68:69], v[58:59], s[42:43], v[84:85]
	v_fma_f64 v[72:73], v[74:75], s[10:11], v[86:87]
	;; [unrolled: 1-line block ×3, first 2 shown]
	v_mul_f64 v[82:83], v[60:61], s[14:15]
	v_add_f64 v[29:30], v[29:30], v[39:40]
	v_mul_f64 v[39:40], v[76:77], s[20:21]
	v_mul_f64 v[60:61], v[60:61], s[24:25]
	v_add_f64 v[66:67], v[90:91], v[66:67]
	v_add_f64 v[15:16], v[68:69], v[15:16]
	;; [unrolled: 1-line block ×4, first 2 shown]
	v_fma_f64 v[72:73], v[74:75], s[20:21], v[82:83]
	v_fma_f64 v[84:85], v[74:75], s[10:11], -v[86:87]
	v_fma_f64 v[78:79], v[58:59], s[34:35], v[39:40]
	v_mul_f64 v[76:77], v[76:77], s[26:27]
	v_fma_f64 v[80:81], v[74:75], s[20:21], -v[82:83]
	v_fma_f64 v[39:40], v[58:59], s[14:15], v[39:40]
	v_mul_f64 v[82:83], v[70:71], s[26:27]
	v_fma_f64 v[86:87], v[58:59], s[28:29], v[88:89]
	v_add_f64 v[25:26], v[72:73], v[25:26]
	v_fma_f64 v[72:73], v[74:75], s[26:27], v[60:61]
	v_add_f64 v[49:50], v[78:79], v[49:50]
	v_mul_f64 v[78:79], v[62:63], s[24:25]
	v_add_f64 v[47:48], v[84:85], v[47:48]
	v_fma_f64 v[84:85], v[58:59], s[40:41], v[76:77]
	v_add_f64 v[27:28], v[39:40], v[27:28]
	v_fma_f64 v[39:40], v[74:75], s[26:27], -v[60:61]
	v_fma_f64 v[58:59], v[58:59], s[24:25], v[76:77]
	v_add_f64 v[60:61], v[72:73], v[66:67]
	v_fma_f64 v[72:73], v[43:44], s[40:41], v[82:83]
	v_fma_f64 v[66:67], v[51:52], s[26:27], v[78:79]
	v_mul_f64 v[74:75], v[62:63], s[30:31]
	v_mul_f64 v[76:77], v[70:71], s[12:13]
	v_add_f64 v[45:46], v[86:87], v[45:46]
	v_add_f64 v[5:6], v[39:40], v[5:6]
	v_fma_f64 v[39:40], v[51:52], s[26:27], -v[78:79]
	v_add_f64 v[58:59], v[58:59], v[7:8]
	v_mul_f64 v[78:79], v[62:63], s[14:15]
	v_add_f64 v[7:8], v[66:67], v[23:24]
	v_add_f64 v[23:24], v[72:73], v[41:42]
	v_fma_f64 v[41:42], v[43:44], s[24:25], v[82:83]
	v_fma_f64 v[66:67], v[51:52], s[12:13], v[74:75]
	;; [unrolled: 1-line block ×3, first 2 shown]
	v_add_f64 v[21:22], v[39:40], v[21:22]
	v_mul_f64 v[39:40], v[70:71], s[20:21]
	v_fma_f64 v[74:75], v[51:52], s[12:13], -v[74:75]
	v_fma_f64 v[76:77], v[43:44], s[30:31], v[76:77]
	v_add_f64 v[53:54], v[80:81], v[53:54]
	v_add_f64 v[31:32], v[41:42], v[31:32]
	;; [unrolled: 1-line block ×3, first 2 shown]
	v_fma_f64 v[41:42], v[51:52], s[20:21], v[78:79]
	v_mul_f64 v[66:67], v[62:63], s[36:37]
	v_add_f64 v[37:38], v[72:73], v[37:38]
	v_fma_f64 v[72:73], v[43:44], s[34:35], v[39:40]
	v_add_f64 v[29:30], v[74:75], v[29:30]
	v_add_f64 v[74:75], v[76:77], v[15:16]
	v_fma_f64 v[15:16], v[51:52], s[20:21], -v[78:79]
	v_fma_f64 v[39:40], v[43:44], s[14:15], v[39:40]
	v_mul_f64 v[76:77], v[70:71], s[38:39]
	v_add_f64 v[41:42], v[41:42], v[13:14]
	v_fma_f64 v[13:14], v[51:52], s[38:39], v[66:67]
	v_mul_f64 v[62:63], v[62:63], s[28:29]
	v_mul_f64 v[70:71], v[70:71], s[10:11]
	v_add_f64 v[64:65], v[84:85], v[64:65]
	v_add_f64 v[68:69], v[72:73], v[68:69]
	;; [unrolled: 1-line block ×4, first 2 shown]
	v_fma_f64 v[15:16], v[43:44], s[42:43], v[76:77]
	v_fma_f64 v[45:46], v[51:52], s[38:39], -v[66:67]
	v_add_f64 v[66:67], v[13:14], v[25:26]
	v_fma_f64 v[13:14], v[43:44], s[36:37], v[76:77]
	v_fma_f64 v[25:26], v[51:52], s[10:11], v[62:63]
	;; [unrolled: 1-line block ×3, first 2 shown]
	v_mul_f64 v[76:77], v[11:12], s[36:37]
	v_mul_f64 v[78:79], v[19:20], s[38:39]
	v_add_f64 v[49:50], v[15:16], v[49:50]
	v_add_f64 v[45:46], v[45:46], v[53:54]
	v_fma_f64 v[15:16], v[51:52], s[10:11], -v[62:63]
	v_add_f64 v[51:52], v[13:14], v[27:28]
	v_add_f64 v[53:54], v[25:26], v[60:61]
	;; [unrolled: 1-line block ×3, first 2 shown]
	v_fma_f64 v[13:14], v[17:18], s[38:39], v[76:77]
	v_fma_f64 v[25:26], v[9:10], s[42:43], v[78:79]
	v_fma_f64 v[27:28], v[17:18], s[38:39], -v[76:77]
	v_mul_f64 v[62:63], v[11:12], s[34:35]
	v_mul_f64 v[64:65], v[19:20], s[20:21]
	v_add_f64 v[72:73], v[15:16], v[5:6]
	v_fma_f64 v[43:44], v[43:44], s[28:29], v[70:71]
	v_fma_f64 v[15:16], v[9:10], s[36:37], v[78:79]
	v_add_f64 v[5:6], v[13:14], v[7:8]
	v_add_f64 v[7:8], v[25:26], v[23:24]
	;; [unrolled: 1-line block ×3, first 2 shown]
	v_fma_f64 v[21:22], v[17:18], s[20:21], v[62:63]
	v_fma_f64 v[23:24], v[9:10], s[14:15], v[64:65]
	v_mul_f64 v[70:71], v[11:12], s[24:25]
	v_mul_f64 v[76:77], v[19:20], s[26:27]
	v_fma_f64 v[25:26], v[17:18], s[20:21], -v[62:63]
	v_fma_f64 v[27:28], v[9:10], s[34:35], v[64:65]
	v_add_f64 v[15:16], v[15:16], v[31:32]
	v_add_f64 v[58:59], v[43:44], v[58:59]
	;; [unrolled: 1-line block ×4, first 2 shown]
	v_fma_f64 v[31:32], v[17:18], s[26:27], v[70:71]
	v_fma_f64 v[35:36], v[9:10], s[40:41], v[76:77]
	v_fma_f64 v[37:38], v[17:18], s[26:27], -v[70:71]
	v_fma_f64 v[43:44], v[9:10], s[24:25], v[76:77]
	v_mul_f64 v[62:63], v[11:12], s[28:29]
	v_mul_f64 v[64:65], v[19:20], s[10:11]
	;; [unrolled: 1-line block ×4, first 2 shown]
	v_add_f64 v[25:26], v[25:26], v[29:30]
	v_add_f64 v[29:30], v[31:32], v[41:42]
	;; [unrolled: 1-line block ×5, first 2 shown]
	v_fma_f64 v[39:40], v[17:18], s[10:11], v[62:63]
	v_fma_f64 v[41:42], v[9:10], s[6:7], v[64:65]
	v_fma_f64 v[43:44], v[17:18], s[10:11], -v[62:63]
	v_fma_f64 v[47:48], v[9:10], s[28:29], v[64:65]
	v_fma_f64 v[62:63], v[17:18], s[12:13], v[11:12]
	;; [unrolled: 1-line block ×3, first 2 shown]
	v_fma_f64 v[68:69], v[17:18], s[12:13], -v[11:12]
	v_fma_f64 v[70:71], v[9:10], s[4:5], v[19:20]
	v_add_f64 v[9:10], v[39:40], v[66:67]
	v_add_f64 v[11:12], v[41:42], v[49:50]
	;; [unrolled: 1-line block ×8, first 2 shown]
	v_mad_u32_u24 v47, v57, s33, v56
	v_add_f64 v[27:28], v[27:28], v[74:75]
	ds_write_b128 v47, v[1:4]
	ds_write_b128 v47, v[5:8] offset:176
	ds_write_b128 v47, v[21:24] offset:352
	;; [unrolled: 1-line block ×10, first 2 shown]
	v_mul_lo_u16_e32 v1, 24, v57
	v_mov_b32_e32 v2, 11
	v_mul_lo_u16_sdwa v1, v1, v2 dst_sel:DWORD dst_unused:UNUSED_PAD src0_sel:BYTE_1 src1_sel:DWORD
	v_sub_u16_e32 v35, v57, v1
	v_mov_b32_e32 v1, 10
	v_mul_u32_u24_sdwa v1, v35, v1 dst_sel:DWORD dst_unused:UNUSED_PAD src0_sel:BYTE_0 src1_sel:DWORD
	v_lshlrev_b32_e32 v44, 4, v1
	s_waitcnt lgkmcnt(0)
	s_barrier
	global_load_dwordx4 v[1:4], v44, s[8:9]
	global_load_dwordx4 v[5:8], v44, s[8:9] offset:16
	global_load_dwordx4 v[9:12], v44, s[8:9] offset:32
	;; [unrolled: 1-line block ×9, first 2 shown]
	ds_read_b128 v[44:47], v56 offset:1936
	ds_read_b128 v[48:51], v56
	ds_read_b128 v[57:60], v56 offset:3872
	ds_read_b128 v[61:64], v56 offset:5808
	v_add_u32_sdwa v0, v0, v35 dst_sel:DWORD dst_unused:UNUSED_PAD src0_sel:DWORD src1_sel:BYTE_0
	s_waitcnt vmcnt(9) lgkmcnt(3)
	v_mul_f64 v[52:53], v[46:47], v[3:4]
	v_mul_f64 v[3:4], v[44:45], v[3:4]
	s_waitcnt vmcnt(8) lgkmcnt(1)
	v_mul_f64 v[65:66], v[59:60], v[7:8]
	v_mul_f64 v[7:8], v[57:58], v[7:8]
	v_fma_f64 v[44:45], v[44:45], v[1:2], v[52:53]
	v_fma_f64 v[46:47], v[46:47], v[1:2], -v[3:4]
	s_waitcnt vmcnt(7) lgkmcnt(0)
	v_mul_f64 v[52:53], v[63:64], v[11:12]
	v_mul_f64 v[11:12], v[61:62], v[11:12]
	v_fma_f64 v[57:58], v[57:58], v[5:6], v[65:66]
	v_fma_f64 v[59:60], v[59:60], v[5:6], -v[7:8]
	ds_read_b128 v[1:4], v56 offset:7744
	ds_read_b128 v[5:8], v56 offset:9680
	v_add_f64 v[65:66], v[48:49], v[44:45]
	v_add_f64 v[67:68], v[50:51], v[46:47]
	v_fma_f64 v[52:53], v[61:62], v[9:10], v[52:53]
	s_waitcnt vmcnt(6) lgkmcnt(1)
	v_mul_f64 v[69:70], v[3:4], v[15:16]
	v_mul_f64 v[15:16], v[1:2], v[15:16]
	v_fma_f64 v[61:62], v[63:64], v[9:10], -v[11:12]
	v_add_f64 v[9:10], v[65:66], v[57:58]
	v_add_f64 v[11:12], v[67:68], v[59:60]
	v_fma_f64 v[63:64], v[1:2], v[13:14], v[69:70]
	v_fma_f64 v[13:14], v[3:4], v[13:14], -v[15:16]
	s_waitcnt vmcnt(5) lgkmcnt(0)
	v_mul_f64 v[15:16], v[7:8], v[19:20]
	v_mul_f64 v[19:20], v[5:6], v[19:20]
	ds_read_b128 v[1:4], v56 offset:11616
	v_add_f64 v[65:66], v[9:10], v[52:53]
	v_add_f64 v[67:68], v[11:12], v[61:62]
	ds_read_b128 v[9:12], v56 offset:13552
	s_waitcnt vmcnt(4) lgkmcnt(1)
	v_mul_f64 v[69:70], v[3:4], v[23:24]
	v_mul_f64 v[23:24], v[1:2], v[23:24]
	v_fma_f64 v[15:16], v[5:6], v[17:18], v[15:16]
	v_fma_f64 v[17:18], v[7:8], v[17:18], -v[19:20]
	v_add_f64 v[5:6], v[65:66], v[63:64]
	v_add_f64 v[7:8], v[67:68], v[13:14]
	v_fma_f64 v[19:20], v[1:2], v[21:22], v[69:70]
	v_fma_f64 v[21:22], v[3:4], v[21:22], -v[23:24]
	s_waitcnt vmcnt(3) lgkmcnt(0)
	v_mul_f64 v[23:24], v[11:12], v[27:28]
	v_mul_f64 v[27:28], v[9:10], v[27:28]
	v_add_f64 v[65:66], v[5:6], v[15:16]
	v_add_f64 v[67:68], v[7:8], v[17:18]
	ds_read_b128 v[1:4], v56 offset:15488
	ds_read_b128 v[5:8], v56 offset:17424
	v_fma_f64 v[23:24], v[9:10], v[25:26], v[23:24]
	s_waitcnt vmcnt(2) lgkmcnt(1)
	v_mul_f64 v[69:70], v[3:4], v[31:32]
	v_mul_f64 v[31:32], v[1:2], v[31:32]
	v_fma_f64 v[25:26], v[11:12], v[25:26], -v[27:28]
	v_add_f64 v[27:28], v[65:66], v[19:20]
	v_add_f64 v[65:66], v[67:68], v[21:22]
	ds_read_b128 v[9:12], v56 offset:19360
	v_fma_f64 v[67:68], v[1:2], v[29:30], v[69:70]
	s_waitcnt vmcnt(1) lgkmcnt(1)
	v_mul_f64 v[1:2], v[7:8], v[38:39]
	v_mul_f64 v[38:39], v[5:6], v[38:39]
	v_fma_f64 v[29:30], v[3:4], v[29:30], -v[31:32]
	s_waitcnt vmcnt(0) lgkmcnt(0)
	v_mul_f64 v[3:4], v[9:10], v[42:43]
	v_add_f64 v[27:28], v[27:28], v[23:24]
	v_add_f64 v[31:32], v[65:66], v[25:26]
	v_fma_f64 v[5:6], v[5:6], v[36:37], v[1:2]
	v_fma_f64 v[7:8], v[7:8], v[36:37], -v[38:39]
	v_mul_f64 v[1:2], v[11:12], v[42:43]
	v_fma_f64 v[11:12], v[11:12], v[40:41], -v[3:4]
	v_add_f64 v[3:4], v[27:28], v[67:68]
	v_add_f64 v[27:28], v[31:32], v[29:30]
	v_fma_f64 v[9:10], v[9:10], v[40:41], v[1:2]
	v_add_f64 v[31:32], v[46:47], -v[11:12]
	v_add_f64 v[1:2], v[3:4], v[5:6]
	v_add_f64 v[3:4], v[27:28], v[7:8]
	;; [unrolled: 1-line block ×3, first 2 shown]
	v_mul_f64 v[36:37], v[31:32], s[14:15]
	v_add_f64 v[1:2], v[1:2], v[9:10]
	v_add_f64 v[3:4], v[3:4], v[11:12]
	v_add_f64 v[11:12], v[46:47], v[11:12]
	v_mul_f64 v[38:39], v[31:32], s[6:7]
	v_mul_f64 v[40:41], v[31:32], s[4:5]
	v_add_f64 v[9:10], v[44:45], -v[9:10]
	v_mul_f64 v[42:43], v[31:32], s[24:25]
	v_mul_f64 v[31:32], v[31:32], s[36:37]
	v_fma_f64 v[44:45], v[27:28], s[20:21], v[36:37]
	v_fma_f64 v[36:37], v[27:28], s[20:21], -v[36:37]
	v_mul_f64 v[71:72], v[11:12], s[20:21]
	v_mul_f64 v[73:74], v[11:12], s[10:11]
	v_fma_f64 v[46:47], v[27:28], s[10:11], v[38:39]
	v_fma_f64 v[38:39], v[27:28], s[10:11], -v[38:39]
	v_fma_f64 v[65:66], v[27:28], s[12:13], v[40:41]
	v_fma_f64 v[40:41], v[27:28], s[12:13], -v[40:41]
	v_fma_f64 v[69:70], v[27:28], s[26:27], v[42:43]
	v_fma_f64 v[42:43], v[27:28], s[26:27], -v[42:43]
	v_fma_f64 v[75:76], v[27:28], s[38:39], v[31:32]
	v_mul_f64 v[77:78], v[11:12], s[12:13]
	v_fma_f64 v[27:28], v[27:28], s[38:39], -v[31:32]
	v_mul_f64 v[31:32], v[11:12], s[26:27]
	v_mul_f64 v[11:12], v[11:12], s[38:39]
	v_fma_f64 v[79:80], v[9:10], s[34:35], v[71:72]
	v_fma_f64 v[81:82], v[9:10], s[28:29], v[73:74]
	;; [unrolled: 1-line block ×10, first 2 shown]
	v_add_f64 v[11:12], v[48:49], v[44:45]
	v_add_f64 v[44:45], v[50:51], v[79:80]
	;; [unrolled: 1-line block ×3, first 2 shown]
	v_add_f64 v[81:82], v[59:60], -v[7:8]
	v_add_f64 v[7:8], v[59:60], v[7:8]
	v_add_f64 v[59:60], v[50:51], v[83:84]
	v_add_f64 v[83:84], v[57:58], v[5:6]
	v_add_f64 v[5:6], v[57:58], -v[5:6]
	v_add_f64 v[36:37], v[48:49], v[36:37]
	v_add_f64 v[71:72], v[50:51], v[71:72]
	;; [unrolled: 1-line block ×3, first 2 shown]
	v_mul_f64 v[89:90], v[81:82], s[6:7]
	v_mul_f64 v[56:57], v[7:8], s[10:11]
	v_add_f64 v[38:39], v[48:49], v[38:39]
	v_add_f64 v[73:74], v[50:51], v[73:74]
	;; [unrolled: 1-line block ×6, first 2 shown]
	v_fma_f64 v[91:92], v[83:84], s[10:11], v[89:90]
	v_add_f64 v[85:86], v[50:51], v[85:86]
	v_add_f64 v[42:43], v[48:49], v[42:43]
	;; [unrolled: 1-line block ×5, first 2 shown]
	v_mul_f64 v[93:94], v[81:82], s[24:25]
	v_fma_f64 v[95:96], v[5:6], s[28:29], v[56:57]
	v_add_f64 v[27:28], v[48:49], v[27:28]
	v_mul_f64 v[48:49], v[7:8], s[26:27]
	v_add_f64 v[9:10], v[50:51], v[9:10]
	v_add_f64 v[11:12], v[91:92], v[11:12]
	v_fma_f64 v[50:51], v[83:84], s[10:11], -v[89:90]
	v_fma_f64 v[56:57], v[5:6], s[6:7], v[56:57]
	v_mul_f64 v[91:92], v[81:82], s[42:43]
	v_fma_f64 v[89:90], v[83:84], s[26:27], v[93:94]
	v_add_f64 v[44:45], v[95:96], v[44:45]
	v_fma_f64 v[95:96], v[5:6], s[40:41], v[48:49]
	v_fma_f64 v[93:94], v[83:84], s[26:27], -v[93:94]
	v_mul_f64 v[97:98], v[7:8], s[38:39]
	v_add_f64 v[36:37], v[50:51], v[36:37]
	v_add_f64 v[50:51], v[56:57], v[71:72]
	v_fma_f64 v[48:49], v[5:6], s[24:25], v[48:49]
	v_fma_f64 v[56:57], v[83:84], s[38:39], v[91:92]
	v_add_f64 v[46:47], v[89:90], v[46:47]
	v_add_f64 v[71:72], v[95:96], v[79:80]
	;; [unrolled: 1-line block ×3, first 2 shown]
	v_fma_f64 v[79:80], v[5:6], s[36:37], v[97:98]
	v_fma_f64 v[89:90], v[83:84], s[38:39], -v[91:92]
	v_fma_f64 v[91:92], v[5:6], s[42:43], v[97:98]
	v_mul_f64 v[93:94], v[81:82], s[30:31]
	v_add_f64 v[48:49], v[48:49], v[73:74]
	v_add_f64 v[56:57], v[56:57], v[65:66]
	v_mul_f64 v[65:66], v[81:82], s[34:35]
	v_mul_f64 v[73:74], v[7:8], s[12:13]
	v_add_f64 v[58:59], v[79:80], v[59:60]
	v_add_f64 v[40:41], v[89:90], v[40:41]
	;; [unrolled: 1-line block ×3, first 2 shown]
	v_fma_f64 v[79:80], v[83:84], s[12:13], v[93:94]
	v_mul_f64 v[7:8], v[7:8], s[20:21]
	v_fma_f64 v[81:82], v[83:84], s[12:13], -v[93:94]
	v_fma_f64 v[89:90], v[83:84], s[20:21], v[65:66]
	v_fma_f64 v[91:92], v[5:6], s[4:5], v[73:74]
	v_fma_f64 v[65:66], v[83:84], s[20:21], -v[65:66]
	v_fma_f64 v[73:74], v[5:6], s[30:31], v[73:74]
	v_add_f64 v[83:84], v[61:62], -v[29:30]
	v_add_f64 v[29:30], v[61:62], v[29:30]
	v_fma_f64 v[60:61], v[5:6], s[14:15], v[7:8]
	v_fma_f64 v[5:6], v[5:6], s[34:35], v[7:8]
	v_add_f64 v[7:8], v[79:80], v[69:70]
	v_add_f64 v[69:70], v[91:92], v[85:86]
	;; [unrolled: 1-line block ×3, first 2 shown]
	v_add_f64 v[52:53], v[52:53], -v[67:68]
	v_mul_f64 v[67:68], v[83:84], s[4:5]
	v_mul_f64 v[85:86], v[29:30], s[12:13]
	v_add_f64 v[42:43], v[81:82], v[42:43]
	v_add_f64 v[31:32], v[73:74], v[31:32]
	;; [unrolled: 1-line block ×3, first 2 shown]
	v_mul_f64 v[75:76], v[83:84], s[42:43]
	v_mul_f64 v[81:82], v[29:30], s[38:39]
	v_add_f64 v[60:61], v[60:61], v[87:88]
	v_fma_f64 v[87:88], v[79:80], s[12:13], v[67:68]
	v_fma_f64 v[89:90], v[52:53], s[30:31], v[85:86]
	v_add_f64 v[27:28], v[65:66], v[27:28]
	v_fma_f64 v[65:66], v[79:80], s[12:13], -v[67:68]
	v_add_f64 v[5:6], v[5:6], v[9:10]
	v_fma_f64 v[9:10], v[52:53], s[4:5], v[85:86]
	v_fma_f64 v[67:68], v[79:80], s[38:39], v[75:76]
	;; [unrolled: 1-line block ×3, first 2 shown]
	v_add_f64 v[11:12], v[87:88], v[11:12]
	v_mul_f64 v[87:88], v[83:84], s[28:29]
	v_add_f64 v[44:45], v[89:90], v[44:45]
	v_add_f64 v[36:37], v[65:66], v[36:37]
	v_mul_f64 v[65:66], v[29:30], s[10:11]
	v_add_f64 v[9:10], v[9:10], v[50:51]
	v_add_f64 v[46:47], v[67:68], v[46:47]
	;; [unrolled: 1-line block ×3, first 2 shown]
	v_fma_f64 v[67:68], v[79:80], s[38:39], -v[75:76]
	v_fma_f64 v[71:72], v[52:53], s[42:43], v[81:82]
	v_mul_f64 v[81:82], v[83:84], s[14:15]
	v_fma_f64 v[75:76], v[79:80], s[10:11], v[87:88]
	v_fma_f64 v[85:86], v[52:53], s[6:7], v[65:66]
	v_mul_f64 v[89:90], v[29:30], s[20:21]
	v_fma_f64 v[65:66], v[52:53], s[28:29], v[65:66]
	v_mul_f64 v[29:30], v[29:30], s[26:27]
	v_add_f64 v[38:39], v[67:68], v[38:39]
	v_add_f64 v[48:49], v[71:72], v[48:49]
	v_fma_f64 v[67:68], v[79:80], s[20:21], v[81:82]
	v_add_f64 v[56:57], v[75:76], v[56:57]
	v_mul_f64 v[75:76], v[83:84], s[24:25]
	v_fma_f64 v[71:72], v[52:53], s[34:35], v[89:90]
	v_add_f64 v[65:66], v[65:66], v[77:78]
	v_fma_f64 v[77:78], v[79:80], s[20:21], -v[81:82]
	v_add_f64 v[81:82], v[63:64], v[23:24]
	v_add_f64 v[23:24], v[63:64], -v[23:24]
	v_add_f64 v[7:8], v[67:68], v[7:8]
	v_add_f64 v[67:68], v[13:14], -v[25:26]
	v_add_f64 v[13:14], v[13:14], v[25:26]
	v_add_f64 v[69:70], v[71:72], v[69:70]
	v_fma_f64 v[25:26], v[52:53], s[14:15], v[89:90]
	v_fma_f64 v[71:72], v[79:80], s[26:27], v[75:76]
	v_add_f64 v[42:43], v[77:78], v[42:43]
	v_fma_f64 v[77:78], v[52:53], s[40:41], v[29:30]
	v_fma_f64 v[87:88], v[79:80], s[10:11], -v[87:88]
	v_mul_f64 v[83:84], v[67:68], s[24:25]
	v_mul_f64 v[62:63], v[13:14], s[26:27]
	v_fma_f64 v[29:30], v[52:53], s[24:25], v[29:30]
	v_add_f64 v[25:26], v[25:26], v[31:32]
	v_add_f64 v[31:32], v[71:72], v[73:74]
	v_fma_f64 v[71:72], v[79:80], s[26:27], -v[75:76]
	v_add_f64 v[52:53], v[77:78], v[60:61]
	v_mul_f64 v[60:61], v[67:68], s[30:31]
	v_fma_f64 v[73:74], v[81:82], s[26:27], v[83:84]
	v_fma_f64 v[75:76], v[23:24], s[40:41], v[62:63]
	v_fma_f64 v[77:78], v[81:82], s[26:27], -v[83:84]
	v_mul_f64 v[79:80], v[13:14], s[12:13]
	v_add_f64 v[58:59], v[85:86], v[58:59]
	v_add_f64 v[27:28], v[71:72], v[27:28]
	;; [unrolled: 1-line block ×3, first 2 shown]
	v_fma_f64 v[5:6], v[23:24], s[24:25], v[62:63]
	v_fma_f64 v[29:30], v[81:82], s[12:13], v[60:61]
	v_add_f64 v[11:12], v[73:74], v[11:12]
	v_add_f64 v[44:45], v[75:76], v[44:45]
	;; [unrolled: 1-line block ×3, first 2 shown]
	v_fma_f64 v[36:37], v[23:24], s[4:5], v[79:80]
	v_mul_f64 v[73:74], v[67:68], s[14:15]
	v_mul_f64 v[75:76], v[13:14], s[20:21]
	v_add_f64 v[9:10], v[5:6], v[9:10]
	v_add_f64 v[29:30], v[29:30], v[46:47]
	v_fma_f64 v[5:6], v[81:82], s[12:13], -v[60:61]
	v_fma_f64 v[46:47], v[23:24], s[30:31], v[79:80]
	v_mul_f64 v[60:61], v[67:68], s[36:37]
	v_add_f64 v[50:51], v[36:37], v[50:51]
	v_fma_f64 v[36:37], v[81:82], s[20:21], v[73:74]
	v_fma_f64 v[77:78], v[23:24], s[34:35], v[75:76]
	;; [unrolled: 1-line block ×3, first 2 shown]
	v_add_f64 v[40:41], v[87:88], v[40:41]
	v_fma_f64 v[73:74], v[81:82], s[20:21], -v[73:74]
	v_add_f64 v[79:80], v[5:6], v[38:39]
	v_add_f64 v[46:47], v[46:47], v[48:49]
	v_fma_f64 v[5:6], v[81:82], s[38:39], v[60:61]
	v_mul_f64 v[38:39], v[13:14], s[38:39]
	v_add_f64 v[48:49], v[36:37], v[56:57]
	v_add_f64 v[56:57], v[77:78], v[58:59]
	;; [unrolled: 1-line block ×3, first 2 shown]
	v_mul_f64 v[36:37], v[67:68], s[28:29]
	v_add_f64 v[66:67], v[17:18], -v[21:22]
	v_add_f64 v[17:18], v[17:18], v[21:22]
	v_add_f64 v[40:41], v[73:74], v[40:41]
	v_mul_f64 v[13:14], v[13:14], s[10:11]
	v_add_f64 v[64:65], v[5:6], v[7:8]
	v_fma_f64 v[5:6], v[23:24], s[42:43], v[38:39]
	v_fma_f64 v[21:22], v[23:24], s[36:37], v[38:39]
	v_add_f64 v[73:74], v[15:16], v[19:20]
	v_add_f64 v[19:20], v[15:16], -v[19:20]
	v_mul_f64 v[75:76], v[17:18], s[38:39]
	v_fma_f64 v[7:8], v[81:82], s[38:39], -v[60:61]
	v_fma_f64 v[38:39], v[81:82], s[10:11], v[36:37]
	v_fma_f64 v[60:61], v[23:24], s[6:7], v[13:14]
	v_mul_f64 v[15:16], v[66:67], s[36:37]
	v_add_f64 v[68:69], v[5:6], v[69:70]
	v_fma_f64 v[5:6], v[81:82], s[10:11], -v[36:37]
	v_add_f64 v[77:78], v[21:22], v[25:26]
	v_fma_f64 v[21:22], v[19:20], s[42:43], v[75:76]
	v_fma_f64 v[13:14], v[23:24], s[28:29], v[13:14]
	v_mul_f64 v[23:24], v[17:18], s[20:21]
	v_add_f64 v[42:43], v[7:8], v[42:43]
	v_add_f64 v[81:82], v[38:39], v[31:32]
	;; [unrolled: 1-line block ×3, first 2 shown]
	v_fma_f64 v[7:8], v[73:74], s[38:39], v[15:16]
	v_mul_f64 v[25:26], v[66:67], s[34:35]
	v_add_f64 v[60:61], v[5:6], v[27:28]
	v_fma_f64 v[5:6], v[73:74], s[38:39], -v[15:16]
	v_fma_f64 v[15:16], v[19:20], s[36:37], v[75:76]
	v_add_f64 v[38:39], v[21:22], v[44:45]
	v_mul_f64 v[21:22], v[66:67], s[24:25]
	v_fma_f64 v[27:28], v[19:20], s[14:15], v[23:24]
	v_add_f64 v[36:37], v[7:8], v[11:12]
	v_fma_f64 v[11:12], v[73:74], s[20:21], v[25:26]
	v_mul_f64 v[44:45], v[17:18], s[26:27]
	v_fma_f64 v[25:26], v[73:74], s[20:21], -v[25:26]
	v_add_f64 v[7:8], v[15:16], v[9:10]
	v_fma_f64 v[15:16], v[19:20], s[34:35], v[23:24]
	v_fma_f64 v[23:24], v[73:74], s[26:27], v[21:22]
	v_add_f64 v[31:32], v[27:28], v[50:51]
	v_mul_f64 v[50:51], v[66:67], s[28:29]
	v_mul_f64 v[75:76], v[17:18], s[10:11]
	v_add_f64 v[5:6], v[5:6], v[62:63]
	v_add_f64 v[29:30], v[11:12], v[29:30]
	v_fma_f64 v[62:63], v[19:20], s[40:41], v[44:45]
	v_add_f64 v[9:10], v[25:26], v[79:80]
	v_add_f64 v[11:12], v[15:16], v[46:47]
	;; [unrolled: 1-line block ×3, first 2 shown]
	v_fma_f64 v[15:16], v[73:74], s[26:27], -v[21:22]
	v_fma_f64 v[21:22], v[19:20], s[24:25], v[44:45]
	v_fma_f64 v[23:24], v[73:74], s[10:11], v[50:51]
	;; [unrolled: 1-line block ×3, first 2 shown]
	v_mul_f64 v[48:49], v[66:67], s[4:5]
	v_fma_f64 v[50:51], v[73:74], s[10:11], -v[50:51]
	v_add_f64 v[27:28], v[62:63], v[56:57]
	v_add_f64 v[46:47], v[13:14], v[71:72]
	v_mul_f64 v[56:57], v[17:18], s[12:13]
	v_add_f64 v[13:14], v[15:16], v[40:41]
	v_add_f64 v[15:16], v[21:22], v[58:59]
	;; [unrolled: 1-line block ×4, first 2 shown]
	v_fma_f64 v[40:41], v[19:20], s[28:29], v[75:76]
	v_fma_f64 v[44:45], v[73:74], s[12:13], v[48:49]
	v_add_f64 v[17:18], v[50:51], v[42:43]
	v_mad_u64_u32 v[50:51], s[6:7], s16, v33, 0
	v_fma_f64 v[48:49], v[73:74], s[12:13], -v[48:49]
	v_fma_f64 v[42:43], v[19:20], s[30:31], v[56:57]
	v_fma_f64 v[56:57], v[19:20], s[4:5], v[56:57]
	v_add_f64 v[19:20], v[40:41], v[77:78]
	v_add_f64 v[40:41], v[44:45], v[81:82]
	v_mov_b32_e32 v44, v51
	v_mad_u64_u32 v[58:59], s[4:5], s17, v33, v[44:45]
	v_mul_lo_u32 v33, v0, s18
	v_add_f64 v[44:45], v[48:49], v[60:61]
	v_mov_b32_e32 v51, v58
	v_lshlrev_b64 v[48:49], 4, v[50:51]
	v_mov_b32_e32 v0, s1
	v_add_co_u32_e32 v35, vcc, s0, v48
	v_addc_co_u32_e32 v50, vcc, v0, v49, vcc
	v_lshlrev_b64 v[48:49], 4, v[33:34]
	s_mul_i32 s0, s18, 11
	v_add_co_u32_e32 v48, vcc, v35, v48
	v_addc_co_u32_e32 v49, vcc, v50, v49, vcc
	v_add_u32_e32 v33, s0, v33
	global_store_dwordx4 v[48:49], v[1:4], off
	v_add_f64 v[42:43], v[42:43], v[52:53]
	v_lshlrev_b64 v[0:1], 4, v[33:34]
	v_add_u32_e32 v33, s0, v33
	v_add_co_u32_e32 v0, vcc, v35, v0
	v_addc_co_u32_e32 v1, vcc, v50, v1, vcc
	global_store_dwordx4 v[0:1], v[36:39], off
	v_lshlrev_b64 v[0:1], 4, v[33:34]
	v_add_u32_e32 v33, s0, v33
	v_add_co_u32_e32 v0, vcc, v35, v0
	v_addc_co_u32_e32 v1, vcc, v50, v1, vcc
	global_store_dwordx4 v[0:1], v[29:32], off
	;; [unrolled: 5-line block ×3, first 2 shown]
	v_lshlrev_b64 v[0:1], 4, v[33:34]
	v_add_u32_e32 v33, s0, v33
	v_add_co_u32_e32 v0, vcc, v35, v0
	v_addc_co_u32_e32 v1, vcc, v50, v1, vcc
	v_add_f64 v[46:47], v[56:57], v[46:47]
	global_store_dwordx4 v[0:1], v[21:24], off
	v_lshlrev_b64 v[0:1], 4, v[33:34]
	v_add_u32_e32 v33, s0, v33
	v_add_co_u32_e32 v0, vcc, v35, v0
	v_addc_co_u32_e32 v1, vcc, v50, v1, vcc
	global_store_dwordx4 v[0:1], v[40:43], off
	v_lshlrev_b64 v[0:1], 4, v[33:34]
	v_add_u32_e32 v33, s0, v33
	v_add_co_u32_e32 v0, vcc, v35, v0
	v_addc_co_u32_e32 v1, vcc, v50, v1, vcc
	;; [unrolled: 5-line block ×5, first 2 shown]
	global_store_dwordx4 v[0:1], v[9:12], off
	v_lshlrev_b64 v[0:1], 4, v[33:34]
	v_add_co_u32_e32 v0, vcc, v35, v0
	v_addc_co_u32_e32 v1, vcc, v50, v1, vcc
	global_store_dwordx4 v[0:1], v[5:8], off
	s_endpgm
	.section	.rodata,"a",@progbits
	.p2align	6, 0x0
	.amdhsa_kernel fft_rtc_back_len121_factors_11_11_wgs_121_tpt_11_dp_op_CI_CI_sbrc_aligned_dirReg
		.amdhsa_group_segment_fixed_size 0
		.amdhsa_private_segment_fixed_size 0
		.amdhsa_kernarg_size 104
		.amdhsa_user_sgpr_count 6
		.amdhsa_user_sgpr_private_segment_buffer 1
		.amdhsa_user_sgpr_dispatch_ptr 0
		.amdhsa_user_sgpr_queue_ptr 0
		.amdhsa_user_sgpr_kernarg_segment_ptr 1
		.amdhsa_user_sgpr_dispatch_id 0
		.amdhsa_user_sgpr_flat_scratch_init 0
		.amdhsa_user_sgpr_private_segment_size 0
		.amdhsa_uses_dynamic_stack 0
		.amdhsa_system_sgpr_private_segment_wavefront_offset 0
		.amdhsa_system_sgpr_workgroup_id_x 1
		.amdhsa_system_sgpr_workgroup_id_y 0
		.amdhsa_system_sgpr_workgroup_id_z 0
		.amdhsa_system_sgpr_workgroup_info 0
		.amdhsa_system_vgpr_workitem_id 0
		.amdhsa_next_free_vgpr 99
		.amdhsa_next_free_sgpr 44
		.amdhsa_reserve_vcc 1
		.amdhsa_reserve_flat_scratch 0
		.amdhsa_float_round_mode_32 0
		.amdhsa_float_round_mode_16_64 0
		.amdhsa_float_denorm_mode_32 3
		.amdhsa_float_denorm_mode_16_64 3
		.amdhsa_dx10_clamp 1
		.amdhsa_ieee_mode 1
		.amdhsa_fp16_overflow 0
		.amdhsa_exception_fp_ieee_invalid_op 0
		.amdhsa_exception_fp_denorm_src 0
		.amdhsa_exception_fp_ieee_div_zero 0
		.amdhsa_exception_fp_ieee_overflow 0
		.amdhsa_exception_fp_ieee_underflow 0
		.amdhsa_exception_fp_ieee_inexact 0
		.amdhsa_exception_int_div_zero 0
	.end_amdhsa_kernel
	.text
.Lfunc_end0:
	.size	fft_rtc_back_len121_factors_11_11_wgs_121_tpt_11_dp_op_CI_CI_sbrc_aligned_dirReg, .Lfunc_end0-fft_rtc_back_len121_factors_11_11_wgs_121_tpt_11_dp_op_CI_CI_sbrc_aligned_dirReg
                                        ; -- End function
	.section	.AMDGPU.csdata,"",@progbits
; Kernel info:
; codeLenInByte = 7788
; NumSgprs: 48
; NumVgprs: 99
; ScratchSize: 0
; MemoryBound: 0
; FloatMode: 240
; IeeeMode: 1
; LDSByteSize: 0 bytes/workgroup (compile time only)
; SGPRBlocks: 5
; VGPRBlocks: 24
; NumSGPRsForWavesPerEU: 48
; NumVGPRsForWavesPerEU: 99
; Occupancy: 2
; WaveLimiterHint : 1
; COMPUTE_PGM_RSRC2:SCRATCH_EN: 0
; COMPUTE_PGM_RSRC2:USER_SGPR: 6
; COMPUTE_PGM_RSRC2:TRAP_HANDLER: 0
; COMPUTE_PGM_RSRC2:TGID_X_EN: 1
; COMPUTE_PGM_RSRC2:TGID_Y_EN: 0
; COMPUTE_PGM_RSRC2:TGID_Z_EN: 0
; COMPUTE_PGM_RSRC2:TIDIG_COMP_CNT: 0
	.type	__hip_cuid_b1e650a44d2a7d4a,@object ; @__hip_cuid_b1e650a44d2a7d4a
	.section	.bss,"aw",@nobits
	.globl	__hip_cuid_b1e650a44d2a7d4a
__hip_cuid_b1e650a44d2a7d4a:
	.byte	0                               ; 0x0
	.size	__hip_cuid_b1e650a44d2a7d4a, 1

	.ident	"AMD clang version 19.0.0git (https://github.com/RadeonOpenCompute/llvm-project roc-6.4.0 25133 c7fe45cf4b819c5991fe208aaa96edf142730f1d)"
	.section	".note.GNU-stack","",@progbits
	.addrsig
	.addrsig_sym __hip_cuid_b1e650a44d2a7d4a
	.amdgpu_metadata
---
amdhsa.kernels:
  - .args:
      - .actual_access:  read_only
        .address_space:  global
        .offset:         0
        .size:           8
        .value_kind:     global_buffer
      - .offset:         8
        .size:           8
        .value_kind:     by_value
      - .actual_access:  read_only
        .address_space:  global
        .offset:         16
        .size:           8
        .value_kind:     global_buffer
      - .actual_access:  read_only
        .address_space:  global
        .offset:         24
        .size:           8
        .value_kind:     global_buffer
      - .actual_access:  read_only
        .address_space:  global
        .offset:         32
        .size:           8
        .value_kind:     global_buffer
      - .offset:         40
        .size:           8
        .value_kind:     by_value
      - .actual_access:  read_only
        .address_space:  global
        .offset:         48
        .size:           8
        .value_kind:     global_buffer
      - .actual_access:  read_only
        .address_space:  global
        .offset:         56
        .size:           8
        .value_kind:     global_buffer
      - .offset:         64
        .size:           4
        .value_kind:     by_value
      - .actual_access:  read_only
        .address_space:  global
        .offset:         72
        .size:           8
        .value_kind:     global_buffer
      - .actual_access:  read_only
        .address_space:  global
        .offset:         80
        .size:           8
        .value_kind:     global_buffer
      - .actual_access:  read_only
        .address_space:  global
        .offset:         88
        .size:           8
        .value_kind:     global_buffer
      - .actual_access:  write_only
        .address_space:  global
        .offset:         96
        .size:           8
        .value_kind:     global_buffer
    .group_segment_fixed_size: 0
    .kernarg_segment_align: 8
    .kernarg_segment_size: 104
    .language:       OpenCL C
    .language_version:
      - 2
      - 0
    .max_flat_workgroup_size: 121
    .name:           fft_rtc_back_len121_factors_11_11_wgs_121_tpt_11_dp_op_CI_CI_sbrc_aligned_dirReg
    .private_segment_fixed_size: 0
    .sgpr_count:     48
    .sgpr_spill_count: 0
    .symbol:         fft_rtc_back_len121_factors_11_11_wgs_121_tpt_11_dp_op_CI_CI_sbrc_aligned_dirReg.kd
    .uniform_work_group_size: 1
    .uses_dynamic_stack: false
    .vgpr_count:     99
    .vgpr_spill_count: 0
    .wavefront_size: 64
amdhsa.target:   amdgcn-amd-amdhsa--gfx906
amdhsa.version:
  - 1
  - 2
...

	.end_amdgpu_metadata
